;; amdgpu-corpus repo=ggml-org/llama.cpp kind=compiled arch=gfx906 opt=O3
	.amdgcn_target "amdgcn-amd-amdhsa--gfx906"
	.amdhsa_code_object_version 6
	.section	.text._ZL12init_indicesPiii,"axG",@progbits,_ZL12init_indicesPiii,comdat
	.globl	_ZL12init_indicesPiii           ; -- Begin function _ZL12init_indicesPiii
	.p2align	8
	.type	_ZL12init_indicesPiii,@function
_ZL12init_indicesPiii:                  ; @_ZL12init_indicesPiii
; %bb.0:
	s_load_dword s2, s[4:5], 0x1c
	s_load_dwordx2 s[0:1], s[4:5], 0x8
	s_waitcnt lgkmcnt(0)
	s_and_b32 s2, s2, 0xffff
	s_mul_i32 s6, s6, s2
	v_add_u32_e32 v0, s6, v0
	s_cmp_lt_i32 s7, s1
	v_cmp_gt_i32_e32 vcc, s0, v0
	s_cselect_b64 s[2:3], -1, 0
	s_and_b64 s[2:3], s[2:3], vcc
	s_and_saveexec_b64 s[8:9], s[2:3]
	s_cbranch_execz .LBB0_2
; %bb.1:
	s_load_dwordx2 s[2:3], s[4:5], 0x0
	s_mul_i32 s0, s0, s7
	v_add_u32_e32 v1, s0, v0
	v_ashrrev_i32_e32 v2, 31, v1
	v_lshlrev_b64 v[1:2], 2, v[1:2]
	s_waitcnt lgkmcnt(0)
	v_mov_b32_e32 v3, s3
	v_add_co_u32_e32 v1, vcc, s2, v1
	v_addc_co_u32_e32 v2, vcc, v3, v2, vcc
	global_store_dword v[1:2], v0, off
.LBB0_2:
	s_endpgm
	.section	.rodata,"a",@progbits
	.p2align	6, 0x0
	.amdhsa_kernel _ZL12init_indicesPiii
		.amdhsa_group_segment_fixed_size 0
		.amdhsa_private_segment_fixed_size 0
		.amdhsa_kernarg_size 272
		.amdhsa_user_sgpr_count 6
		.amdhsa_user_sgpr_private_segment_buffer 1
		.amdhsa_user_sgpr_dispatch_ptr 0
		.amdhsa_user_sgpr_queue_ptr 0
		.amdhsa_user_sgpr_kernarg_segment_ptr 1
		.amdhsa_user_sgpr_dispatch_id 0
		.amdhsa_user_sgpr_flat_scratch_init 0
		.amdhsa_user_sgpr_private_segment_size 0
		.amdhsa_uses_dynamic_stack 0
		.amdhsa_system_sgpr_private_segment_wavefront_offset 0
		.amdhsa_system_sgpr_workgroup_id_x 1
		.amdhsa_system_sgpr_workgroup_id_y 1
		.amdhsa_system_sgpr_workgroup_id_z 0
		.amdhsa_system_sgpr_workgroup_info 0
		.amdhsa_system_vgpr_workitem_id 0
		.amdhsa_next_free_vgpr 4
		.amdhsa_next_free_sgpr 10
		.amdhsa_reserve_vcc 1
		.amdhsa_reserve_flat_scratch 0
		.amdhsa_float_round_mode_32 0
		.amdhsa_float_round_mode_16_64 0
		.amdhsa_float_denorm_mode_32 3
		.amdhsa_float_denorm_mode_16_64 3
		.amdhsa_dx10_clamp 1
		.amdhsa_ieee_mode 1
		.amdhsa_fp16_overflow 0
		.amdhsa_exception_fp_ieee_invalid_op 0
		.amdhsa_exception_fp_denorm_src 0
		.amdhsa_exception_fp_ieee_div_zero 0
		.amdhsa_exception_fp_ieee_overflow 0
		.amdhsa_exception_fp_ieee_underflow 0
		.amdhsa_exception_fp_ieee_inexact 0
		.amdhsa_exception_int_div_zero 0
	.end_amdhsa_kernel
	.section	.text._ZL12init_indicesPiii,"axG",@progbits,_ZL12init_indicesPiii,comdat
.Lfunc_end0:
	.size	_ZL12init_indicesPiii, .Lfunc_end0-_ZL12init_indicesPiii
                                        ; -- End function
	.set _ZL12init_indicesPiii.num_vgpr, 4
	.set _ZL12init_indicesPiii.num_agpr, 0
	.set _ZL12init_indicesPiii.numbered_sgpr, 10
	.set _ZL12init_indicesPiii.num_named_barrier, 0
	.set _ZL12init_indicesPiii.private_seg_size, 0
	.set _ZL12init_indicesPiii.uses_vcc, 1
	.set _ZL12init_indicesPiii.uses_flat_scratch, 0
	.set _ZL12init_indicesPiii.has_dyn_sized_stack, 0
	.set _ZL12init_indicesPiii.has_recursion, 0
	.set _ZL12init_indicesPiii.has_indirect_call, 0
	.section	.AMDGPU.csdata,"",@progbits
; Kernel info:
; codeLenInByte = 116
; TotalNumSgprs: 14
; NumVgprs: 4
; ScratchSize: 0
; MemoryBound: 0
; FloatMode: 240
; IeeeMode: 1
; LDSByteSize: 0 bytes/workgroup (compile time only)
; SGPRBlocks: 1
; VGPRBlocks: 0
; NumSGPRsForWavesPerEU: 14
; NumVGPRsForWavesPerEU: 4
; Occupancy: 10
; WaveLimiterHint : 0
; COMPUTE_PGM_RSRC2:SCRATCH_EN: 0
; COMPUTE_PGM_RSRC2:USER_SGPR: 6
; COMPUTE_PGM_RSRC2:TRAP_HANDLER: 0
; COMPUTE_PGM_RSRC2:TGID_X_EN: 1
; COMPUTE_PGM_RSRC2:TGID_Y_EN: 1
; COMPUTE_PGM_RSRC2:TGID_Z_EN: 0
; COMPUTE_PGM_RSRC2:TIDIG_COMP_CNT: 0
	.section	.text._ZL12init_offsetsPiii,"axG",@progbits,_ZL12init_offsetsPiii,comdat
	.globl	_ZL12init_offsetsPiii           ; -- Begin function _ZL12init_offsetsPiii
	.p2align	8
	.type	_ZL12init_offsetsPiii,@function
_ZL12init_offsetsPiii:                  ; @_ZL12init_offsetsPiii
; %bb.0:
	s_load_dword s2, s[4:5], 0x1c
	s_load_dwordx2 s[0:1], s[4:5], 0x8
	s_waitcnt lgkmcnt(0)
	s_and_b32 s2, s2, 0xffff
	s_mul_i32 s6, s6, s2
	v_add_u32_e32 v0, s6, v0
	v_cmp_ge_i32_e32 vcc, s1, v0
	s_and_saveexec_b64 s[2:3], vcc
	s_cbranch_execz .LBB1_2
; %bb.1:
	s_load_dwordx2 s[2:3], s[4:5], 0x0
	v_ashrrev_i32_e32 v1, 31, v0
	v_mul_lo_u32 v2, v0, s0
	v_lshlrev_b64 v[0:1], 2, v[0:1]
	s_waitcnt lgkmcnt(0)
	v_mov_b32_e32 v3, s3
	v_add_co_u32_e32 v0, vcc, s2, v0
	v_addc_co_u32_e32 v1, vcc, v3, v1, vcc
	global_store_dword v[0:1], v2, off
.LBB1_2:
	s_endpgm
	.section	.rodata,"a",@progbits
	.p2align	6, 0x0
	.amdhsa_kernel _ZL12init_offsetsPiii
		.amdhsa_group_segment_fixed_size 0
		.amdhsa_private_segment_fixed_size 0
		.amdhsa_kernarg_size 272
		.amdhsa_user_sgpr_count 6
		.amdhsa_user_sgpr_private_segment_buffer 1
		.amdhsa_user_sgpr_dispatch_ptr 0
		.amdhsa_user_sgpr_queue_ptr 0
		.amdhsa_user_sgpr_kernarg_segment_ptr 1
		.amdhsa_user_sgpr_dispatch_id 0
		.amdhsa_user_sgpr_flat_scratch_init 0
		.amdhsa_user_sgpr_private_segment_size 0
		.amdhsa_uses_dynamic_stack 0
		.amdhsa_system_sgpr_private_segment_wavefront_offset 0
		.amdhsa_system_sgpr_workgroup_id_x 1
		.amdhsa_system_sgpr_workgroup_id_y 0
		.amdhsa_system_sgpr_workgroup_id_z 0
		.amdhsa_system_sgpr_workgroup_info 0
		.amdhsa_system_vgpr_workitem_id 0
		.amdhsa_next_free_vgpr 4
		.amdhsa_next_free_sgpr 7
		.amdhsa_reserve_vcc 1
		.amdhsa_reserve_flat_scratch 0
		.amdhsa_float_round_mode_32 0
		.amdhsa_float_round_mode_16_64 0
		.amdhsa_float_denorm_mode_32 3
		.amdhsa_float_denorm_mode_16_64 3
		.amdhsa_dx10_clamp 1
		.amdhsa_ieee_mode 1
		.amdhsa_fp16_overflow 0
		.amdhsa_exception_fp_ieee_invalid_op 0
		.amdhsa_exception_fp_denorm_src 0
		.amdhsa_exception_fp_ieee_div_zero 0
		.amdhsa_exception_fp_ieee_overflow 0
		.amdhsa_exception_fp_ieee_underflow 0
		.amdhsa_exception_fp_ieee_inexact 0
		.amdhsa_exception_int_div_zero 0
	.end_amdhsa_kernel
	.section	.text._ZL12init_offsetsPiii,"axG",@progbits,_ZL12init_offsetsPiii,comdat
.Lfunc_end1:
	.size	_ZL12init_offsetsPiii, .Lfunc_end1-_ZL12init_offsetsPiii
                                        ; -- End function
	.set _ZL12init_offsetsPiii.num_vgpr, 4
	.set _ZL12init_offsetsPiii.num_agpr, 0
	.set _ZL12init_offsetsPiii.numbered_sgpr, 7
	.set _ZL12init_offsetsPiii.num_named_barrier, 0
	.set _ZL12init_offsetsPiii.private_seg_size, 0
	.set _ZL12init_offsetsPiii.uses_vcc, 1
	.set _ZL12init_offsetsPiii.uses_flat_scratch, 0
	.set _ZL12init_offsetsPiii.has_dyn_sized_stack, 0
	.set _ZL12init_offsetsPiii.has_recursion, 0
	.set _ZL12init_offsetsPiii.has_indirect_call, 0
	.section	.AMDGPU.csdata,"",@progbits
; Kernel info:
; codeLenInByte = 104
; TotalNumSgprs: 11
; NumVgprs: 4
; ScratchSize: 0
; MemoryBound: 0
; FloatMode: 240
; IeeeMode: 1
; LDSByteSize: 0 bytes/workgroup (compile time only)
; SGPRBlocks: 1
; VGPRBlocks: 0
; NumSGPRsForWavesPerEU: 11
; NumVGPRsForWavesPerEU: 4
; Occupancy: 10
; WaveLimiterHint : 0
; COMPUTE_PGM_RSRC2:SCRATCH_EN: 0
; COMPUTE_PGM_RSRC2:USER_SGPR: 6
; COMPUTE_PGM_RSRC2:TRAP_HANDLER: 0
; COMPUTE_PGM_RSRC2:TGID_X_EN: 1
; COMPUTE_PGM_RSRC2:TGID_Y_EN: 0
; COMPUTE_PGM_RSRC2:TGID_Z_EN: 0
; COMPUTE_PGM_RSRC2:TIDIG_COMP_CNT: 0
	.section	.text._ZL17k_argsort_f32_i32IL15ggml_sort_order0EEvPKfPiii,"axG",@progbits,_ZL17k_argsort_f32_i32IL15ggml_sort_order0EEvPKfPiii,comdat
	.globl	_ZL17k_argsort_f32_i32IL15ggml_sort_order0EEvPKfPiii ; -- Begin function _ZL17k_argsort_f32_i32IL15ggml_sort_order0EEvPKfPiii
	.p2align	8
	.type	_ZL17k_argsort_f32_i32IL15ggml_sort_order0EEvPKfPiii,@function
_ZL17k_argsort_f32_i32IL15ggml_sort_order0EEvPKfPiii: ; @_ZL17k_argsort_f32_i32IL15ggml_sort_order0EEvPKfPiii
; %bb.0:
	s_load_dwordx2 s[8:9], s[4:5], 0x10
	s_waitcnt lgkmcnt(0)
	v_cmp_gt_i32_e32 vcc, s9, v0
	s_and_saveexec_b64 s[0:1], vcc
	s_cbranch_execz .LBB2_24
; %bb.1:
	s_load_dwordx4 s[0:3], s[4:5], 0x0
	s_mul_i32 s4, s8, s6
	s_mov_b32 s18, 2
	v_lshl_add_u32 v5, v0, 2, 0
	s_cmp_lt_u32 s9, 2
	ds_write_b32 v5, v0
	s_waitcnt lgkmcnt(0)
	s_barrier
	s_cbranch_scc1 .LBB2_22
; %bb.2:
	s_ashr_i32 s5, s4, 31
	s_lshl_b64 s[6:7], s[4:5], 2
	s_add_u32 s5, s0, s6
	s_addc_u32 s19, s1, s7
	s_branch .LBB2_4
.LBB2_3:                                ;   in Loop: Header=BB2_4 Depth=1
	s_lshl_b32 s18, s18, 1
	s_cmp_gt_i32 s18, s9
	s_cbranch_scc1 .LBB2_22
.LBB2_4:                                ; =>This Loop Header: Depth=1
                                        ;     Child Loop BB2_6 Depth 2
	v_and_b32_e32 v1, s18, v0
	v_cmp_ne_u32_e32 vcc, 0, v1
	s_mov_b32 s20, s18
	s_branch .LBB2_6
.LBB2_5:                                ;   in Loop: Header=BB2_6 Depth=2
	s_or_b64 exec, exec, s[6:7]
	s_cmp_lt_u32 s21, 4
	s_waitcnt lgkmcnt(0)
	s_barrier
	s_cbranch_scc1 .LBB2_3
.LBB2_6:                                ;   Parent Loop BB2_4 Depth=1
                                        ; =>  This Inner Loop Header: Depth=2
	s_mov_b32 s21, s20
	s_lshr_b32 s20, s20, 1
	v_xor_b32_e32 v1, s20, v0
	v_cmp_gt_u32_e64 s[0:1], v1, v0
	s_and_saveexec_b64 s[6:7], s[0:1]
	s_cbranch_execz .LBB2_5
; %bb.7:                                ;   in Loop: Header=BB2_6 Depth=2
	v_lshl_add_u32 v6, v1, 2, 0
	s_and_saveexec_b64 s[0:1], vcc
	s_xor_b64 s[10:11], exec, s[0:1]
	s_cbranch_execz .LBB2_15
; %bb.8:                                ;   in Loop: Header=BB2_6 Depth=2
	ds_read_b32 v1, v6
	ds_read_b32 v3, v5
	s_mov_b64 s[14:15], -1
	s_waitcnt lgkmcnt(1)
	v_cmp_gt_i32_e64 s[0:1], s8, v1
	s_and_saveexec_b64 s[12:13], s[0:1]
	s_cbranch_execz .LBB2_12
; %bb.9:                                ;   in Loop: Header=BB2_6 Depth=2
	s_waitcnt lgkmcnt(0)
	v_cmp_gt_i32_e64 s[0:1], s8, v3
	s_mov_b64 s[16:17], 0
	s_and_saveexec_b64 s[14:15], s[0:1]
	s_cbranch_execz .LBB2_11
; %bb.10:                               ;   in Loop: Header=BB2_6 Depth=2
	v_ashrrev_i32_e32 v4, 31, v3
	v_lshlrev_b64 v[7:8], 2, v[3:4]
	v_mov_b32_e32 v2, s19
	v_add_co_u32_e64 v7, s[0:1], s5, v7
	v_addc_co_u32_e64 v8, s[0:1], v2, v8, s[0:1]
	v_ashrrev_i32_e32 v2, 31, v1
	v_lshlrev_b64 v[9:10], 2, v[1:2]
	v_mov_b32_e32 v2, s19
	v_add_co_u32_e64 v9, s[0:1], s5, v9
	v_addc_co_u32_e64 v10, s[0:1], v2, v10, s[0:1]
	global_load_dword v2, v[7:8], off
	global_load_dword v4, v[9:10], off
	s_waitcnt vmcnt(0)
	v_cmp_lt_f32_e64 s[0:1], v2, v4
	s_and_b64 s[16:17], s[0:1], exec
.LBB2_11:                               ;   in Loop: Header=BB2_6 Depth=2
	s_or_b64 exec, exec, s[14:15]
	s_orn2_b64 s[14:15], s[16:17], exec
.LBB2_12:                               ;   in Loop: Header=BB2_6 Depth=2
	s_or_b64 exec, exec, s[12:13]
	s_and_saveexec_b64 s[0:1], s[14:15]
	s_cbranch_execz .LBB2_14
; %bb.13:                               ;   in Loop: Header=BB2_6 Depth=2
	ds_write_b32 v5, v1
	s_waitcnt lgkmcnt(1)
	ds_write_b32 v6, v3
.LBB2_14:                               ;   in Loop: Header=BB2_6 Depth=2
	s_or_b64 exec, exec, s[0:1]
                                        ; implicit-def: $vgpr6
.LBB2_15:                               ;   in Loop: Header=BB2_6 Depth=2
	s_andn2_saveexec_b64 s[0:1], s[10:11]
	s_cbranch_execz .LBB2_5
; %bb.16:                               ;   in Loop: Header=BB2_6 Depth=2
	ds_read_b32 v1, v5
	s_waitcnt lgkmcnt(1)
	ds_read_b32 v3, v6
	s_mov_b64 s[12:13], -1
	s_waitcnt lgkmcnt(1)
	v_cmp_gt_i32_e64 s[0:1], s8, v1
	s_and_saveexec_b64 s[10:11], s[0:1]
	s_cbranch_execz .LBB2_20
; %bb.17:                               ;   in Loop: Header=BB2_6 Depth=2
	s_waitcnt lgkmcnt(0)
	v_cmp_gt_i32_e64 s[0:1], s8, v3
	s_mov_b64 s[14:15], 0
	s_and_saveexec_b64 s[12:13], s[0:1]
	s_cbranch_execz .LBB2_19
; %bb.18:                               ;   in Loop: Header=BB2_6 Depth=2
	v_ashrrev_i32_e32 v2, 31, v1
	v_lshlrev_b64 v[7:8], 2, v[1:2]
	v_ashrrev_i32_e32 v4, 31, v3
	v_mov_b32_e32 v2, s19
	v_add_co_u32_e64 v7, s[0:1], s5, v7
	v_lshlrev_b64 v[9:10], 2, v[3:4]
	v_addc_co_u32_e64 v8, s[0:1], v2, v8, s[0:1]
	v_add_co_u32_e64 v9, s[0:1], s5, v9
	v_addc_co_u32_e64 v10, s[0:1], v2, v10, s[0:1]
	global_load_dword v2, v[7:8], off
	global_load_dword v4, v[9:10], off
	s_waitcnt vmcnt(0)
	v_cmp_gt_f32_e64 s[0:1], v2, v4
	s_and_b64 s[14:15], s[0:1], exec
.LBB2_19:                               ;   in Loop: Header=BB2_6 Depth=2
	s_or_b64 exec, exec, s[12:13]
	s_orn2_b64 s[12:13], s[14:15], exec
.LBB2_20:                               ;   in Loop: Header=BB2_6 Depth=2
	s_or_b64 exec, exec, s[10:11]
	s_and_b64 exec, exec, s[12:13]
	s_cbranch_execz .LBB2_5
; %bb.21:                               ;   in Loop: Header=BB2_6 Depth=2
	s_waitcnt lgkmcnt(0)
	ds_write_b32 v5, v3
	ds_write_b32 v6, v1
	s_branch .LBB2_5
.LBB2_22:
	v_cmp_gt_i32_e32 vcc, s8, v0
	s_and_b64 exec, exec, vcc
	s_cbranch_execz .LBB2_24
; %bb.23:
	v_add_u32_e32 v0, s4, v0
	v_ashrrev_i32_e32 v1, 31, v0
	ds_read_b32 v3, v5
	v_lshlrev_b64 v[0:1], 2, v[0:1]
	v_mov_b32_e32 v2, s3
	v_add_co_u32_e32 v0, vcc, s2, v0
	v_addc_co_u32_e32 v1, vcc, v2, v1, vcc
	s_waitcnt lgkmcnt(0)
	global_store_dword v[0:1], v3, off
.LBB2_24:
	s_endpgm
	.section	.rodata,"a",@progbits
	.p2align	6, 0x0
	.amdhsa_kernel _ZL17k_argsort_f32_i32IL15ggml_sort_order0EEvPKfPiii
		.amdhsa_group_segment_fixed_size 0
		.amdhsa_private_segment_fixed_size 0
		.amdhsa_kernarg_size 24
		.amdhsa_user_sgpr_count 6
		.amdhsa_user_sgpr_private_segment_buffer 1
		.amdhsa_user_sgpr_dispatch_ptr 0
		.amdhsa_user_sgpr_queue_ptr 0
		.amdhsa_user_sgpr_kernarg_segment_ptr 1
		.amdhsa_user_sgpr_dispatch_id 0
		.amdhsa_user_sgpr_flat_scratch_init 0
		.amdhsa_user_sgpr_private_segment_size 0
		.amdhsa_uses_dynamic_stack 0
		.amdhsa_system_sgpr_private_segment_wavefront_offset 0
		.amdhsa_system_sgpr_workgroup_id_x 1
		.amdhsa_system_sgpr_workgroup_id_y 0
		.amdhsa_system_sgpr_workgroup_id_z 0
		.amdhsa_system_sgpr_workgroup_info 0
		.amdhsa_system_vgpr_workitem_id 0
		.amdhsa_next_free_vgpr 11
		.amdhsa_next_free_sgpr 22
		.amdhsa_reserve_vcc 1
		.amdhsa_reserve_flat_scratch 0
		.amdhsa_float_round_mode_32 0
		.amdhsa_float_round_mode_16_64 0
		.amdhsa_float_denorm_mode_32 3
		.amdhsa_float_denorm_mode_16_64 3
		.amdhsa_dx10_clamp 1
		.amdhsa_ieee_mode 1
		.amdhsa_fp16_overflow 0
		.amdhsa_exception_fp_ieee_invalid_op 0
		.amdhsa_exception_fp_denorm_src 0
		.amdhsa_exception_fp_ieee_div_zero 0
		.amdhsa_exception_fp_ieee_overflow 0
		.amdhsa_exception_fp_ieee_underflow 0
		.amdhsa_exception_fp_ieee_inexact 0
		.amdhsa_exception_int_div_zero 0
	.end_amdhsa_kernel
	.section	.text._ZL17k_argsort_f32_i32IL15ggml_sort_order0EEvPKfPiii,"axG",@progbits,_ZL17k_argsort_f32_i32IL15ggml_sort_order0EEvPKfPiii,comdat
.Lfunc_end2:
	.size	_ZL17k_argsort_f32_i32IL15ggml_sort_order0EEvPKfPiii, .Lfunc_end2-_ZL17k_argsort_f32_i32IL15ggml_sort_order0EEvPKfPiii
                                        ; -- End function
	.set _ZL17k_argsort_f32_i32IL15ggml_sort_order0EEvPKfPiii.num_vgpr, 11
	.set _ZL17k_argsort_f32_i32IL15ggml_sort_order0EEvPKfPiii.num_agpr, 0
	.set _ZL17k_argsort_f32_i32IL15ggml_sort_order0EEvPKfPiii.numbered_sgpr, 22
	.set _ZL17k_argsort_f32_i32IL15ggml_sort_order0EEvPKfPiii.num_named_barrier, 0
	.set _ZL17k_argsort_f32_i32IL15ggml_sort_order0EEvPKfPiii.private_seg_size, 0
	.set _ZL17k_argsort_f32_i32IL15ggml_sort_order0EEvPKfPiii.uses_vcc, 1
	.set _ZL17k_argsort_f32_i32IL15ggml_sort_order0EEvPKfPiii.uses_flat_scratch, 0
	.set _ZL17k_argsort_f32_i32IL15ggml_sort_order0EEvPKfPiii.has_dyn_sized_stack, 0
	.set _ZL17k_argsort_f32_i32IL15ggml_sort_order0EEvPKfPiii.has_recursion, 0
	.set _ZL17k_argsort_f32_i32IL15ggml_sort_order0EEvPKfPiii.has_indirect_call, 0
	.section	.AMDGPU.csdata,"",@progbits
; Kernel info:
; codeLenInByte = 668
; TotalNumSgprs: 26
; NumVgprs: 11
; ScratchSize: 0
; MemoryBound: 0
; FloatMode: 240
; IeeeMode: 1
; LDSByteSize: 0 bytes/workgroup (compile time only)
; SGPRBlocks: 3
; VGPRBlocks: 2
; NumSGPRsForWavesPerEU: 26
; NumVGPRsForWavesPerEU: 11
; Occupancy: 10
; WaveLimiterHint : 0
; COMPUTE_PGM_RSRC2:SCRATCH_EN: 0
; COMPUTE_PGM_RSRC2:USER_SGPR: 6
; COMPUTE_PGM_RSRC2:TRAP_HANDLER: 0
; COMPUTE_PGM_RSRC2:TGID_X_EN: 1
; COMPUTE_PGM_RSRC2:TGID_Y_EN: 0
; COMPUTE_PGM_RSRC2:TGID_Z_EN: 0
; COMPUTE_PGM_RSRC2:TIDIG_COMP_CNT: 0
	.section	.text._ZL17k_argsort_f32_i32IL15ggml_sort_order1EEvPKfPiii,"axG",@progbits,_ZL17k_argsort_f32_i32IL15ggml_sort_order1EEvPKfPiii,comdat
	.globl	_ZL17k_argsort_f32_i32IL15ggml_sort_order1EEvPKfPiii ; -- Begin function _ZL17k_argsort_f32_i32IL15ggml_sort_order1EEvPKfPiii
	.p2align	8
	.type	_ZL17k_argsort_f32_i32IL15ggml_sort_order1EEvPKfPiii,@function
_ZL17k_argsort_f32_i32IL15ggml_sort_order1EEvPKfPiii: ; @_ZL17k_argsort_f32_i32IL15ggml_sort_order1EEvPKfPiii
; %bb.0:
	s_load_dwordx2 s[8:9], s[4:5], 0x10
	s_waitcnt lgkmcnt(0)
	v_cmp_gt_i32_e32 vcc, s9, v0
	s_and_saveexec_b64 s[0:1], vcc
	s_cbranch_execz .LBB3_24
; %bb.1:
	s_load_dwordx4 s[0:3], s[4:5], 0x0
	s_mul_i32 s4, s8, s6
	s_mov_b32 s18, 2
	v_lshl_add_u32 v5, v0, 2, 0
	s_cmp_lt_u32 s9, 2
	ds_write_b32 v5, v0
	s_waitcnt lgkmcnt(0)
	s_barrier
	s_cbranch_scc1 .LBB3_22
; %bb.2:
	s_ashr_i32 s5, s4, 31
	s_lshl_b64 s[6:7], s[4:5], 2
	s_add_u32 s5, s0, s6
	s_addc_u32 s19, s1, s7
	s_branch .LBB3_4
.LBB3_3:                                ;   in Loop: Header=BB3_4 Depth=1
	s_lshl_b32 s18, s18, 1
	s_cmp_gt_i32 s18, s9
	s_cbranch_scc1 .LBB3_22
.LBB3_4:                                ; =>This Loop Header: Depth=1
                                        ;     Child Loop BB3_6 Depth 2
	v_and_b32_e32 v1, s18, v0
	v_cmp_ne_u32_e32 vcc, 0, v1
	s_mov_b32 s20, s18
	s_branch .LBB3_6
.LBB3_5:                                ;   in Loop: Header=BB3_6 Depth=2
	s_or_b64 exec, exec, s[6:7]
	s_cmp_lt_u32 s21, 4
	s_waitcnt lgkmcnt(0)
	s_barrier
	s_cbranch_scc1 .LBB3_3
.LBB3_6:                                ;   Parent Loop BB3_4 Depth=1
                                        ; =>  This Inner Loop Header: Depth=2
	s_mov_b32 s21, s20
	s_lshr_b32 s20, s20, 1
	v_xor_b32_e32 v1, s20, v0
	v_cmp_gt_u32_e64 s[0:1], v1, v0
	s_and_saveexec_b64 s[6:7], s[0:1]
	s_cbranch_execz .LBB3_5
; %bb.7:                                ;   in Loop: Header=BB3_6 Depth=2
	v_lshl_add_u32 v6, v1, 2, 0
	s_and_saveexec_b64 s[0:1], vcc
	s_xor_b64 s[10:11], exec, s[0:1]
	s_cbranch_execz .LBB3_15
; %bb.8:                                ;   in Loop: Header=BB3_6 Depth=2
	ds_read_b32 v1, v6
	ds_read_b32 v3, v5
	s_mov_b64 s[14:15], -1
	s_waitcnt lgkmcnt(1)
	v_cmp_gt_i32_e64 s[0:1], s8, v1
	s_and_saveexec_b64 s[12:13], s[0:1]
	s_cbranch_execz .LBB3_12
; %bb.9:                                ;   in Loop: Header=BB3_6 Depth=2
	s_waitcnt lgkmcnt(0)
	v_cmp_gt_i32_e64 s[0:1], s8, v3
	s_mov_b64 s[16:17], 0
	s_and_saveexec_b64 s[14:15], s[0:1]
	s_cbranch_execz .LBB3_11
; %bb.10:                               ;   in Loop: Header=BB3_6 Depth=2
	v_ashrrev_i32_e32 v4, 31, v3
	v_lshlrev_b64 v[7:8], 2, v[3:4]
	v_mov_b32_e32 v2, s19
	v_add_co_u32_e64 v7, s[0:1], s5, v7
	v_addc_co_u32_e64 v8, s[0:1], v2, v8, s[0:1]
	v_ashrrev_i32_e32 v2, 31, v1
	v_lshlrev_b64 v[9:10], 2, v[1:2]
	v_mov_b32_e32 v2, s19
	v_add_co_u32_e64 v9, s[0:1], s5, v9
	v_addc_co_u32_e64 v10, s[0:1], v2, v10, s[0:1]
	global_load_dword v2, v[7:8], off
	global_load_dword v4, v[9:10], off
	s_waitcnt vmcnt(0)
	v_cmp_gt_f32_e64 s[0:1], v2, v4
	s_and_b64 s[16:17], s[0:1], exec
.LBB3_11:                               ;   in Loop: Header=BB3_6 Depth=2
	s_or_b64 exec, exec, s[14:15]
	s_orn2_b64 s[14:15], s[16:17], exec
.LBB3_12:                               ;   in Loop: Header=BB3_6 Depth=2
	s_or_b64 exec, exec, s[12:13]
	s_and_saveexec_b64 s[0:1], s[14:15]
	s_cbranch_execz .LBB3_14
; %bb.13:                               ;   in Loop: Header=BB3_6 Depth=2
	ds_write_b32 v5, v1
	s_waitcnt lgkmcnt(1)
	ds_write_b32 v6, v3
.LBB3_14:                               ;   in Loop: Header=BB3_6 Depth=2
	s_or_b64 exec, exec, s[0:1]
                                        ; implicit-def: $vgpr6
.LBB3_15:                               ;   in Loop: Header=BB3_6 Depth=2
	s_andn2_saveexec_b64 s[0:1], s[10:11]
	s_cbranch_execz .LBB3_5
; %bb.16:                               ;   in Loop: Header=BB3_6 Depth=2
	ds_read_b32 v1, v5
	s_waitcnt lgkmcnt(1)
	ds_read_b32 v3, v6
	s_mov_b64 s[12:13], -1
	s_waitcnt lgkmcnt(1)
	v_cmp_gt_i32_e64 s[0:1], s8, v1
	s_and_saveexec_b64 s[10:11], s[0:1]
	s_cbranch_execz .LBB3_20
; %bb.17:                               ;   in Loop: Header=BB3_6 Depth=2
	s_waitcnt lgkmcnt(0)
	v_cmp_gt_i32_e64 s[0:1], s8, v3
	s_mov_b64 s[14:15], 0
	s_and_saveexec_b64 s[12:13], s[0:1]
	s_cbranch_execz .LBB3_19
; %bb.18:                               ;   in Loop: Header=BB3_6 Depth=2
	v_ashrrev_i32_e32 v2, 31, v1
	v_lshlrev_b64 v[7:8], 2, v[1:2]
	v_ashrrev_i32_e32 v4, 31, v3
	v_mov_b32_e32 v2, s19
	v_add_co_u32_e64 v7, s[0:1], s5, v7
	v_lshlrev_b64 v[9:10], 2, v[3:4]
	v_addc_co_u32_e64 v8, s[0:1], v2, v8, s[0:1]
	v_add_co_u32_e64 v9, s[0:1], s5, v9
	v_addc_co_u32_e64 v10, s[0:1], v2, v10, s[0:1]
	global_load_dword v2, v[7:8], off
	global_load_dword v4, v[9:10], off
	s_waitcnt vmcnt(0)
	v_cmp_lt_f32_e64 s[0:1], v2, v4
	s_and_b64 s[14:15], s[0:1], exec
.LBB3_19:                               ;   in Loop: Header=BB3_6 Depth=2
	s_or_b64 exec, exec, s[12:13]
	s_orn2_b64 s[12:13], s[14:15], exec
.LBB3_20:                               ;   in Loop: Header=BB3_6 Depth=2
	s_or_b64 exec, exec, s[10:11]
	s_and_b64 exec, exec, s[12:13]
	s_cbranch_execz .LBB3_5
; %bb.21:                               ;   in Loop: Header=BB3_6 Depth=2
	s_waitcnt lgkmcnt(0)
	ds_write_b32 v5, v3
	ds_write_b32 v6, v1
	s_branch .LBB3_5
.LBB3_22:
	v_cmp_gt_i32_e32 vcc, s8, v0
	s_and_b64 exec, exec, vcc
	s_cbranch_execz .LBB3_24
; %bb.23:
	v_add_u32_e32 v0, s4, v0
	v_ashrrev_i32_e32 v1, 31, v0
	ds_read_b32 v3, v5
	v_lshlrev_b64 v[0:1], 2, v[0:1]
	v_mov_b32_e32 v2, s3
	v_add_co_u32_e32 v0, vcc, s2, v0
	v_addc_co_u32_e32 v1, vcc, v2, v1, vcc
	s_waitcnt lgkmcnt(0)
	global_store_dword v[0:1], v3, off
.LBB3_24:
	s_endpgm
	.section	.rodata,"a",@progbits
	.p2align	6, 0x0
	.amdhsa_kernel _ZL17k_argsort_f32_i32IL15ggml_sort_order1EEvPKfPiii
		.amdhsa_group_segment_fixed_size 0
		.amdhsa_private_segment_fixed_size 0
		.amdhsa_kernarg_size 24
		.amdhsa_user_sgpr_count 6
		.amdhsa_user_sgpr_private_segment_buffer 1
		.amdhsa_user_sgpr_dispatch_ptr 0
		.amdhsa_user_sgpr_queue_ptr 0
		.amdhsa_user_sgpr_kernarg_segment_ptr 1
		.amdhsa_user_sgpr_dispatch_id 0
		.amdhsa_user_sgpr_flat_scratch_init 0
		.amdhsa_user_sgpr_private_segment_size 0
		.amdhsa_uses_dynamic_stack 0
		.amdhsa_system_sgpr_private_segment_wavefront_offset 0
		.amdhsa_system_sgpr_workgroup_id_x 1
		.amdhsa_system_sgpr_workgroup_id_y 0
		.amdhsa_system_sgpr_workgroup_id_z 0
		.amdhsa_system_sgpr_workgroup_info 0
		.amdhsa_system_vgpr_workitem_id 0
		.amdhsa_next_free_vgpr 11
		.amdhsa_next_free_sgpr 22
		.amdhsa_reserve_vcc 1
		.amdhsa_reserve_flat_scratch 0
		.amdhsa_float_round_mode_32 0
		.amdhsa_float_round_mode_16_64 0
		.amdhsa_float_denorm_mode_32 3
		.amdhsa_float_denorm_mode_16_64 3
		.amdhsa_dx10_clamp 1
		.amdhsa_ieee_mode 1
		.amdhsa_fp16_overflow 0
		.amdhsa_exception_fp_ieee_invalid_op 0
		.amdhsa_exception_fp_denorm_src 0
		.amdhsa_exception_fp_ieee_div_zero 0
		.amdhsa_exception_fp_ieee_overflow 0
		.amdhsa_exception_fp_ieee_underflow 0
		.amdhsa_exception_fp_ieee_inexact 0
		.amdhsa_exception_int_div_zero 0
	.end_amdhsa_kernel
	.section	.text._ZL17k_argsort_f32_i32IL15ggml_sort_order1EEvPKfPiii,"axG",@progbits,_ZL17k_argsort_f32_i32IL15ggml_sort_order1EEvPKfPiii,comdat
.Lfunc_end3:
	.size	_ZL17k_argsort_f32_i32IL15ggml_sort_order1EEvPKfPiii, .Lfunc_end3-_ZL17k_argsort_f32_i32IL15ggml_sort_order1EEvPKfPiii
                                        ; -- End function
	.set _ZL17k_argsort_f32_i32IL15ggml_sort_order1EEvPKfPiii.num_vgpr, 11
	.set _ZL17k_argsort_f32_i32IL15ggml_sort_order1EEvPKfPiii.num_agpr, 0
	.set _ZL17k_argsort_f32_i32IL15ggml_sort_order1EEvPKfPiii.numbered_sgpr, 22
	.set _ZL17k_argsort_f32_i32IL15ggml_sort_order1EEvPKfPiii.num_named_barrier, 0
	.set _ZL17k_argsort_f32_i32IL15ggml_sort_order1EEvPKfPiii.private_seg_size, 0
	.set _ZL17k_argsort_f32_i32IL15ggml_sort_order1EEvPKfPiii.uses_vcc, 1
	.set _ZL17k_argsort_f32_i32IL15ggml_sort_order1EEvPKfPiii.uses_flat_scratch, 0
	.set _ZL17k_argsort_f32_i32IL15ggml_sort_order1EEvPKfPiii.has_dyn_sized_stack, 0
	.set _ZL17k_argsort_f32_i32IL15ggml_sort_order1EEvPKfPiii.has_recursion, 0
	.set _ZL17k_argsort_f32_i32IL15ggml_sort_order1EEvPKfPiii.has_indirect_call, 0
	.section	.AMDGPU.csdata,"",@progbits
; Kernel info:
; codeLenInByte = 668
; TotalNumSgprs: 26
; NumVgprs: 11
; ScratchSize: 0
; MemoryBound: 0
; FloatMode: 240
; IeeeMode: 1
; LDSByteSize: 0 bytes/workgroup (compile time only)
; SGPRBlocks: 3
; VGPRBlocks: 2
; NumSGPRsForWavesPerEU: 26
; NumVGPRsForWavesPerEU: 11
; Occupancy: 10
; WaveLimiterHint : 0
; COMPUTE_PGM_RSRC2:SCRATCH_EN: 0
; COMPUTE_PGM_RSRC2:USER_SGPR: 6
; COMPUTE_PGM_RSRC2:TRAP_HANDLER: 0
; COMPUTE_PGM_RSRC2:TGID_X_EN: 1
; COMPUTE_PGM_RSRC2:TGID_Y_EN: 0
; COMPUTE_PGM_RSRC2:TGID_Z_EN: 0
; COMPUTE_PGM_RSRC2:TIDIG_COMP_CNT: 0
	.section	.AMDGPU.gpr_maximums,"",@progbits
	.set amdgpu.max_num_vgpr, 0
	.set amdgpu.max_num_agpr, 0
	.set amdgpu.max_num_sgpr, 0
	.section	.AMDGPU.csdata,"",@progbits
	.type	__hip_cuid_95a74bf0aaffae4d,@object ; @__hip_cuid_95a74bf0aaffae4d
	.section	.bss,"aw",@nobits
	.globl	__hip_cuid_95a74bf0aaffae4d
__hip_cuid_95a74bf0aaffae4d:
	.byte	0                               ; 0x0
	.size	__hip_cuid_95a74bf0aaffae4d, 1

	.ident	"AMD clang version 22.0.0git (https://github.com/RadeonOpenCompute/llvm-project roc-7.2.4 26084 f58b06dce1f9c15707c5f808fd002e18c2accf7e)"
	.section	".note.GNU-stack","",@progbits
	.addrsig
	.addrsig_sym __hip_cuid_95a74bf0aaffae4d
	.amdgpu_metadata
---
amdhsa.kernels:
  - .args:
      - .address_space:  global
        .offset:         0
        .size:           8
        .value_kind:     global_buffer
      - .offset:         8
        .size:           4
        .value_kind:     by_value
      - .offset:         12
        .size:           4
        .value_kind:     by_value
      - .offset:         16
        .size:           4
        .value_kind:     hidden_block_count_x
      - .offset:         20
        .size:           4
        .value_kind:     hidden_block_count_y
      - .offset:         24
        .size:           4
        .value_kind:     hidden_block_count_z
      - .offset:         28
        .size:           2
        .value_kind:     hidden_group_size_x
      - .offset:         30
        .size:           2
        .value_kind:     hidden_group_size_y
      - .offset:         32
        .size:           2
        .value_kind:     hidden_group_size_z
      - .offset:         34
        .size:           2
        .value_kind:     hidden_remainder_x
      - .offset:         36
        .size:           2
        .value_kind:     hidden_remainder_y
      - .offset:         38
        .size:           2
        .value_kind:     hidden_remainder_z
      - .offset:         56
        .size:           8
        .value_kind:     hidden_global_offset_x
      - .offset:         64
        .size:           8
        .value_kind:     hidden_global_offset_y
      - .offset:         72
        .size:           8
        .value_kind:     hidden_global_offset_z
      - .offset:         80
        .size:           2
        .value_kind:     hidden_grid_dims
    .group_segment_fixed_size: 0
    .kernarg_segment_align: 8
    .kernarg_segment_size: 272
    .language:       OpenCL C
    .language_version:
      - 2
      - 0
    .max_flat_workgroup_size: 1024
    .name:           _ZL12init_indicesPiii
    .private_segment_fixed_size: 0
    .sgpr_count:     14
    .sgpr_spill_count: 0
    .symbol:         _ZL12init_indicesPiii.kd
    .uniform_work_group_size: 1
    .uses_dynamic_stack: false
    .vgpr_count:     4
    .vgpr_spill_count: 0
    .wavefront_size: 64
  - .args:
      - .address_space:  global
        .offset:         0
        .size:           8
        .value_kind:     global_buffer
      - .offset:         8
        .size:           4
        .value_kind:     by_value
      - .offset:         12
        .size:           4
        .value_kind:     by_value
      - .offset:         16
        .size:           4
        .value_kind:     hidden_block_count_x
      - .offset:         20
        .size:           4
        .value_kind:     hidden_block_count_y
      - .offset:         24
        .size:           4
        .value_kind:     hidden_block_count_z
      - .offset:         28
        .size:           2
        .value_kind:     hidden_group_size_x
      - .offset:         30
        .size:           2
        .value_kind:     hidden_group_size_y
      - .offset:         32
        .size:           2
        .value_kind:     hidden_group_size_z
      - .offset:         34
        .size:           2
        .value_kind:     hidden_remainder_x
      - .offset:         36
        .size:           2
        .value_kind:     hidden_remainder_y
      - .offset:         38
        .size:           2
        .value_kind:     hidden_remainder_z
      - .offset:         56
        .size:           8
        .value_kind:     hidden_global_offset_x
      - .offset:         64
        .size:           8
        .value_kind:     hidden_global_offset_y
      - .offset:         72
        .size:           8
        .value_kind:     hidden_global_offset_z
      - .offset:         80
        .size:           2
        .value_kind:     hidden_grid_dims
    .group_segment_fixed_size: 0
    .kernarg_segment_align: 8
    .kernarg_segment_size: 272
    .language:       OpenCL C
    .language_version:
      - 2
      - 0
    .max_flat_workgroup_size: 1024
    .name:           _ZL12init_offsetsPiii
    .private_segment_fixed_size: 0
    .sgpr_count:     11
    .sgpr_spill_count: 0
    .symbol:         _ZL12init_offsetsPiii.kd
    .uniform_work_group_size: 1
    .uses_dynamic_stack: false
    .vgpr_count:     4
    .vgpr_spill_count: 0
    .wavefront_size: 64
  - .args:
      - .address_space:  global
        .offset:         0
        .size:           8
        .value_kind:     global_buffer
      - .address_space:  global
        .offset:         8
        .size:           8
        .value_kind:     global_buffer
      - .offset:         16
        .size:           4
        .value_kind:     by_value
      - .offset:         20
        .size:           4
        .value_kind:     by_value
    .group_segment_fixed_size: 0
    .kernarg_segment_align: 8
    .kernarg_segment_size: 24
    .language:       OpenCL C
    .language_version:
      - 2
      - 0
    .max_flat_workgroup_size: 1024
    .name:           _ZL17k_argsort_f32_i32IL15ggml_sort_order0EEvPKfPiii
    .private_segment_fixed_size: 0
    .sgpr_count:     26
    .sgpr_spill_count: 0
    .symbol:         _ZL17k_argsort_f32_i32IL15ggml_sort_order0EEvPKfPiii.kd
    .uniform_work_group_size: 1
    .uses_dynamic_stack: false
    .vgpr_count:     11
    .vgpr_spill_count: 0
    .wavefront_size: 64
  - .args:
      - .address_space:  global
        .offset:         0
        .size:           8
        .value_kind:     global_buffer
      - .address_space:  global
        .offset:         8
        .size:           8
        .value_kind:     global_buffer
      - .offset:         16
        .size:           4
        .value_kind:     by_value
      - .offset:         20
        .size:           4
        .value_kind:     by_value
    .group_segment_fixed_size: 0
    .kernarg_segment_align: 8
    .kernarg_segment_size: 24
    .language:       OpenCL C
    .language_version:
      - 2
      - 0
    .max_flat_workgroup_size: 1024
    .name:           _ZL17k_argsort_f32_i32IL15ggml_sort_order1EEvPKfPiii
    .private_segment_fixed_size: 0
    .sgpr_count:     26
    .sgpr_spill_count: 0
    .symbol:         _ZL17k_argsort_f32_i32IL15ggml_sort_order1EEvPKfPiii.kd
    .uniform_work_group_size: 1
    .uses_dynamic_stack: false
    .vgpr_count:     11
    .vgpr_spill_count: 0
    .wavefront_size: 64
amdhsa.target:   amdgcn-amd-amdhsa--gfx906
amdhsa.version:
  - 1
  - 2
...

	.end_amdgpu_metadata
